;; amdgpu-corpus repo=ROCm/rocFFT kind=compiled arch=gfx1201 opt=O3
	.text
	.amdgcn_target "amdgcn-amd-amdhsa--gfx1201"
	.amdhsa_code_object_version 6
	.protected	fft_rtc_back_len208_factors_13_16_wgs_144_tpt_16_dp_ip_CI_sbcc_dirReg_intrinsicRead ; -- Begin function fft_rtc_back_len208_factors_13_16_wgs_144_tpt_16_dp_ip_CI_sbcc_dirReg_intrinsicRead
	.globl	fft_rtc_back_len208_factors_13_16_wgs_144_tpt_16_dp_ip_CI_sbcc_dirReg_intrinsicRead
	.p2align	8
	.type	fft_rtc_back_len208_factors_13_16_wgs_144_tpt_16_dp_ip_CI_sbcc_dirReg_intrinsicRead,@function
fft_rtc_back_len208_factors_13_16_wgs_144_tpt_16_dp_ip_CI_sbcc_dirReg_intrinsicRead: ; @fft_rtc_back_len208_factors_13_16_wgs_144_tpt_16_dp_ip_CI_sbcc_dirReg_intrinsicRead
; %bb.0:
	s_load_b128 s[8:11], s[0:1], 0x18
	s_mov_b32 s17, 0
	s_mov_b32 s2, 0x71c4fc00
	s_movk_i32 s3, 0x7c
	s_mov_b32 s16, s17
	s_mov_b64 s[22:23], 0
	s_add_nc_u64 s[2:3], s[16:17], s[2:3]
	s_delay_alu instid0(SALU_CYCLE_1) | instskip(NEXT) | instid1(SALU_CYCLE_1)
	s_add_co_i32 s3, s3, 0x1c71c6a0
	s_mul_u64 s[4:5], s[2:3], -9
	s_delay_alu instid0(SALU_CYCLE_1)
	s_mul_hi_u32 s7, s2, s5
	s_mul_i32 s6, s2, s5
	s_mul_hi_u32 s16, s2, s4
	s_mul_i32 s13, s3, s4
	s_add_nc_u64 s[6:7], s[16:17], s[6:7]
	s_mul_hi_u32 s12, s3, s4
	s_mul_hi_u32 s18, s3, s5
	s_mul_i32 s4, s3, s5
	s_wait_kmcnt 0x0
	s_load_b64 s[14:15], s[8:9], 0x8
	s_add_co_u32 s5, s6, s13
	s_add_co_ci_u32 s16, s7, s12
	s_add_co_ci_u32 s5, s18, 0
	s_delay_alu instid0(SALU_CYCLE_1) | instskip(NEXT) | instid1(SALU_CYCLE_1)
	s_add_nc_u64 s[4:5], s[16:17], s[4:5]
	v_add_co_u32 v1, s2, s2, s4
	s_delay_alu instid0(VALU_DEP_1) | instskip(SKIP_1) | instid1(VALU_DEP_1)
	s_cmp_lg_u32 s2, 0
	s_add_co_ci_u32 s6, s3, s5
	v_readfirstlane_b32 s7, v1
	s_wait_kmcnt 0x0
	s_add_nc_u64 s[2:3], s[14:15], -1
	s_wait_alu 0xfffe
	s_mul_hi_u32 s5, s2, s6
	s_mul_i32 s4, s2, s6
	s_mul_hi_u32 s16, s2, s7
	s_mul_hi_u32 s13, s3, s7
	s_mul_i32 s7, s3, s7
	s_wait_alu 0xfffe
	s_add_nc_u64 s[4:5], s[16:17], s[4:5]
	s_mul_hi_u32 s12, s3, s6
	s_wait_alu 0xfffe
	s_add_co_u32 s4, s4, s7
	s_add_co_ci_u32 s16, s5, s13
	s_mul_i32 s6, s3, s6
	s_add_co_ci_u32 s7, s12, 0
	s_delay_alu instid0(SALU_CYCLE_1) | instskip(SKIP_2) | instid1(SALU_CYCLE_1)
	s_add_nc_u64 s[4:5], s[16:17], s[6:7]
	s_wait_alu 0xfffe
	s_mul_u64 s[6:7], s[4:5], 9
	v_sub_co_u32 v1, s2, s2, s6
	s_delay_alu instid0(VALU_DEP_1) | instskip(SKIP_1) | instid1(VALU_DEP_1)
	s_cmp_lg_u32 s2, 0
	s_sub_co_ci_u32 s12, s3, s7
	v_sub_co_u32 v2, s6, v1, 9
	s_delay_alu instid0(VALU_DEP_1) | instskip(SKIP_2) | instid1(VALU_DEP_2)
	s_cmp_lg_u32 s6, 0
	v_readfirstlane_b32 s16, v1
	s_sub_co_ci_u32 s6, s12, 0
	v_readfirstlane_b32 s2, v2
	s_delay_alu instid0(VALU_DEP_1)
	s_cmp_gt_u32 s2, 8
	s_add_nc_u64 s[2:3], s[4:5], 1
	s_cselect_b32 s13, -1, 0
	s_wait_alu 0xfffe
	s_cmp_eq_u32 s6, 0
	s_add_nc_u64 s[6:7], s[4:5], 2
	s_cselect_b32 s13, s13, -1
	s_delay_alu instid0(SALU_CYCLE_1)
	s_cmp_lg_u32 s13, 0
	s_wait_alu 0xfffe
	s_cselect_b32 s2, s6, s2
	s_cselect_b32 s3, s7, s3
	s_cmp_gt_u32 s16, 8
	s_mov_b32 s16, ttmp9
	s_cselect_b32 s6, -1, 0
	s_cmp_eq_u32 s12, 0
	s_wait_alu 0xfffe
	s_cselect_b32 s6, s6, -1
	s_wait_alu 0xfffe
	s_cmp_lg_u32 s6, 0
	s_cselect_b32 s3, s3, s5
	s_cselect_b32 s2, s2, s4
	s_wait_alu 0xfffe
	s_add_nc_u64 s[20:21], s[2:3], 1
	s_delay_alu instid0(SALU_CYCLE_1) | instskip(NEXT) | instid1(VALU_DEP_1)
	v_cmp_lt_u64_e64 s2, s[16:17], s[20:21]
	s_and_b32 vcc_lo, exec_lo, s2
	s_cbranch_vccnz .LBB0_2
; %bb.1:
	v_cvt_f32_u32_e32 v1, s20
	s_sub_co_i32 s3, 0, s20
	s_mov_b32 s23, s17
	s_delay_alu instid0(VALU_DEP_1) | instskip(NEXT) | instid1(TRANS32_DEP_1)
	v_rcp_iflag_f32_e32 v1, v1
	v_mul_f32_e32 v1, 0x4f7ffffe, v1
	s_delay_alu instid0(VALU_DEP_1) | instskip(NEXT) | instid1(VALU_DEP_1)
	v_cvt_u32_f32_e32 v1, v1
	v_readfirstlane_b32 s2, v1
	s_wait_alu 0xfffe
	s_delay_alu instid0(VALU_DEP_1)
	s_mul_i32 s3, s3, s2
	s_wait_alu 0xfffe
	s_mul_hi_u32 s3, s2, s3
	s_wait_alu 0xfffe
	s_add_co_i32 s2, s2, s3
	s_wait_alu 0xfffe
	s_mul_hi_u32 s2, s16, s2
	s_wait_alu 0xfffe
	s_mul_i32 s3, s2, s20
	s_add_co_i32 s4, s2, 1
	s_wait_alu 0xfffe
	s_sub_co_i32 s3, s16, s3
	s_wait_alu 0xfffe
	s_sub_co_i32 s5, s3, s20
	s_cmp_ge_u32 s3, s20
	s_cselect_b32 s2, s4, s2
	s_wait_alu 0xfffe
	s_cselect_b32 s3, s5, s3
	s_add_co_i32 s4, s2, 1
	s_wait_alu 0xfffe
	s_cmp_ge_u32 s3, s20
	s_cselect_b32 s22, s4, s2
.LBB0_2:
	s_load_b64 s[24:25], s[0:1], 0x10
	s_load_b128 s[4:7], s[10:11], 0x0
	s_clause 0x1
	s_load_b64 s[2:3], s[0:1], 0x58
	s_load_b64 s[12:13], s[0:1], 0x0
	s_mul_u64 s[0:1], s[22:23], s[20:21]
	s_delay_alu instid0(SALU_CYCLE_1) | instskip(NEXT) | instid1(SALU_CYCLE_1)
	s_sub_nc_u64 s[0:1], s[16:17], s[0:1]
	s_mul_u64 s[18:19], s[0:1], 9
	s_wait_kmcnt 0x0
	v_cmp_lt_u64_e64 s26, s[24:25], 3
	s_mul_u64 s[0:1], s[6:7], s[18:19]
	s_delay_alu instid0(VALU_DEP_1)
	s_and_b32 vcc_lo, exec_lo, s26
	s_cbranch_vccnz .LBB0_12
; %bb.3:
	s_add_nc_u64 s[26:27], s[10:11], 16
	s_add_nc_u64 s[8:9], s[8:9], 16
	s_mov_b64 s[28:29], 2
	s_mov_b32 s30, 0
.LBB0_4:                                ; =>This Inner Loop Header: Depth=1
	s_load_b64 s[34:35], s[8:9], 0x0
                                        ; implicit-def: $sgpr38_sgpr39
	s_wait_kmcnt 0x0
	s_or_b64 s[36:37], s[22:23], s[34:35]
	s_delay_alu instid0(SALU_CYCLE_1)
	s_mov_b32 s31, s37
	s_mov_b32 s37, -1
	s_wait_alu 0xfffe
	s_cmp_lg_u64 s[30:31], 0
	s_cbranch_scc0 .LBB0_6
; %bb.5:                                ;   in Loop: Header=BB0_4 Depth=1
	s_cvt_f32_u32 s31, s34
	s_cvt_f32_u32 s33, s35
	s_sub_nc_u64 s[40:41], 0, s[34:35]
	s_mov_b32 s37, 0
	s_mov_b32 s45, s30
	s_wait_alu 0xfffe
	s_fmamk_f32 s31, s33, 0x4f800000, s31
	s_wait_alu 0xfffe
	s_delay_alu instid0(SALU_CYCLE_2) | instskip(NEXT) | instid1(TRANS32_DEP_1)
	v_s_rcp_f32 s31, s31
	s_mul_f32 s31, s31, 0x5f7ffffc
	s_wait_alu 0xfffe
	s_delay_alu instid0(SALU_CYCLE_2) | instskip(NEXT) | instid1(SALU_CYCLE_3)
	s_mul_f32 s33, s31, 0x2f800000
	s_trunc_f32 s33, s33
	s_delay_alu instid0(SALU_CYCLE_3) | instskip(SKIP_2) | instid1(SALU_CYCLE_1)
	s_fmamk_f32 s31, s33, 0xcf800000, s31
	s_cvt_u32_f32 s39, s33
	s_wait_alu 0xfffe
	s_cvt_u32_f32 s38, s31
	s_wait_alu 0xfffe
	s_delay_alu instid0(SALU_CYCLE_2)
	s_mul_u64 s[42:43], s[40:41], s[38:39]
	s_wait_alu 0xfffe
	s_mul_hi_u32 s47, s38, s43
	s_mul_i32 s46, s38, s43
	s_mul_hi_u32 s36, s38, s42
	s_mul_i32 s33, s39, s42
	s_add_nc_u64 s[46:47], s[36:37], s[46:47]
	s_mul_hi_u32 s31, s39, s42
	s_mul_hi_u32 s48, s39, s43
	s_add_co_u32 s33, s46, s33
	s_wait_alu 0xfffe
	s_add_co_ci_u32 s44, s47, s31
	s_mul_i32 s42, s39, s43
	s_add_co_ci_u32 s43, s48, 0
	s_wait_alu 0xfffe
	s_add_nc_u64 s[42:43], s[44:45], s[42:43]
	s_wait_alu 0xfffe
	v_add_co_u32 v1, s31, s38, s42
	s_delay_alu instid0(VALU_DEP_1) | instskip(SKIP_1) | instid1(VALU_DEP_1)
	s_cmp_lg_u32 s31, 0
	s_add_co_ci_u32 s39, s39, s43
	v_readfirstlane_b32 s38, v1
	s_mov_b32 s43, s30
	s_wait_alu 0xfffe
	s_delay_alu instid0(VALU_DEP_1)
	s_mul_u64 s[40:41], s[40:41], s[38:39]
	s_wait_alu 0xfffe
	s_mul_hi_u32 s45, s38, s41
	s_mul_i32 s44, s38, s41
	s_mul_hi_u32 s36, s38, s40
	s_mul_i32 s33, s39, s40
	s_add_nc_u64 s[44:45], s[36:37], s[44:45]
	s_mul_hi_u32 s31, s39, s40
	s_mul_hi_u32 s38, s39, s41
	s_add_co_u32 s33, s44, s33
	s_wait_alu 0xfffe
	s_add_co_ci_u32 s42, s45, s31
	s_mul_i32 s40, s39, s41
	s_add_co_ci_u32 s41, s38, 0
	s_wait_alu 0xfffe
	s_add_nc_u64 s[40:41], s[42:43], s[40:41]
	s_wait_alu 0xfffe
	v_add_co_u32 v1, s31, v1, s40
	s_delay_alu instid0(VALU_DEP_1) | instskip(SKIP_1) | instid1(VALU_DEP_1)
	s_cmp_lg_u32 s31, 0
	s_add_co_ci_u32 s31, s39, s41
	v_readfirstlane_b32 s33, v1
	s_wait_alu 0xfffe
	s_mul_hi_u32 s39, s22, s31
	s_mul_i32 s38, s22, s31
	s_mul_hi_u32 s41, s23, s31
	s_mul_i32 s40, s23, s31
	;; [unrolled: 2-line block ×3, first 2 shown]
	s_wait_alu 0xfffe
	s_add_nc_u64 s[38:39], s[36:37], s[38:39]
	s_mul_hi_u32 s33, s23, s33
	s_wait_alu 0xfffe
	s_add_co_u32 s31, s38, s31
	s_add_co_ci_u32 s42, s39, s33
	s_add_co_ci_u32 s41, s41, 0
	s_wait_alu 0xfffe
	s_add_nc_u64 s[38:39], s[42:43], s[40:41]
	s_wait_alu 0xfffe
	s_mul_u64 s[40:41], s[34:35], s[38:39]
	s_add_nc_u64 s[42:43], s[38:39], 1
	s_wait_alu 0xfffe
	v_sub_co_u32 v1, s31, s22, s40
	s_sub_co_i32 s33, s23, s41
	s_cmp_lg_u32 s31, 0
	s_add_nc_u64 s[44:45], s[38:39], 2
	s_delay_alu instid0(VALU_DEP_1) | instskip(SKIP_2) | instid1(VALU_DEP_1)
	v_sub_co_u32 v2, s36, v1, s34
	s_sub_co_ci_u32 s33, s33, s35
	s_cmp_lg_u32 s36, 0
	v_readfirstlane_b32 s36, v2
	s_sub_co_ci_u32 s33, s33, 0
	s_delay_alu instid0(SALU_CYCLE_1) | instskip(SKIP_1) | instid1(VALU_DEP_1)
	s_cmp_ge_u32 s33, s35
	s_cselect_b32 s40, -1, 0
	s_cmp_ge_u32 s36, s34
	s_cselect_b32 s36, -1, 0
	s_cmp_eq_u32 s33, s35
	s_wait_alu 0xfffe
	s_cselect_b32 s33, s36, s40
	s_delay_alu instid0(SALU_CYCLE_1)
	s_cmp_lg_u32 s33, 0
	s_cselect_b32 s33, s44, s42
	s_cselect_b32 s36, s45, s43
	s_cmp_lg_u32 s31, 0
	v_readfirstlane_b32 s31, v1
	s_sub_co_ci_u32 s40, s23, s41
	s_wait_alu 0xfffe
	s_cmp_ge_u32 s40, s35
	s_cselect_b32 s41, -1, 0
	s_cmp_ge_u32 s31, s34
	s_cselect_b32 s31, -1, 0
	s_cmp_eq_u32 s40, s35
	s_wait_alu 0xfffe
	s_cselect_b32 s31, s31, s41
	s_wait_alu 0xfffe
	s_cmp_lg_u32 s31, 0
	s_cselect_b32 s39, s36, s39
	s_cselect_b32 s38, s33, s38
.LBB0_6:                                ;   in Loop: Header=BB0_4 Depth=1
	s_and_not1_b32 vcc_lo, exec_lo, s37
	s_cbranch_vccnz .LBB0_8
; %bb.7:                                ;   in Loop: Header=BB0_4 Depth=1
	v_cvt_f32_u32_e32 v1, s34
	s_sub_co_i32 s33, 0, s34
	s_mov_b32 s39, s30
	s_delay_alu instid0(VALU_DEP_1) | instskip(NEXT) | instid1(TRANS32_DEP_1)
	v_rcp_iflag_f32_e32 v1, v1
	v_mul_f32_e32 v1, 0x4f7ffffe, v1
	s_delay_alu instid0(VALU_DEP_1) | instskip(NEXT) | instid1(VALU_DEP_1)
	v_cvt_u32_f32_e32 v1, v1
	v_readfirstlane_b32 s31, v1
	s_delay_alu instid0(VALU_DEP_1) | instskip(NEXT) | instid1(SALU_CYCLE_1)
	s_mul_i32 s33, s33, s31
	s_mul_hi_u32 s33, s31, s33
	s_delay_alu instid0(SALU_CYCLE_1)
	s_add_co_i32 s31, s31, s33
	s_wait_alu 0xfffe
	s_mul_hi_u32 s31, s22, s31
	s_wait_alu 0xfffe
	s_mul_i32 s33, s31, s34
	s_add_co_i32 s36, s31, 1
	s_sub_co_i32 s33, s22, s33
	s_delay_alu instid0(SALU_CYCLE_1)
	s_sub_co_i32 s37, s33, s34
	s_cmp_ge_u32 s33, s34
	s_cselect_b32 s31, s36, s31
	s_cselect_b32 s33, s37, s33
	s_wait_alu 0xfffe
	s_add_co_i32 s36, s31, 1
	s_cmp_ge_u32 s33, s34
	s_cselect_b32 s38, s36, s31
.LBB0_8:                                ;   in Loop: Header=BB0_4 Depth=1
	s_load_b64 s[36:37], s[26:27], 0x0
	s_add_nc_u64 s[28:29], s[28:29], 1
	s_mul_u64 s[20:21], s[34:35], s[20:21]
	s_wait_alu 0xfffe
	v_cmp_ge_u64_e64 s31, s[28:29], s[24:25]
	s_mul_u64 s[34:35], s[38:39], s[34:35]
	s_add_nc_u64 s[26:27], s[26:27], 8
	s_wait_alu 0xfffe
	s_sub_nc_u64 s[22:23], s[22:23], s[34:35]
	s_add_nc_u64 s[8:9], s[8:9], 8
	s_and_b32 vcc_lo, exec_lo, s31
	s_wait_kmcnt 0x0
	s_wait_alu 0xfffe
	s_mul_u64 s[22:23], s[36:37], s[22:23]
	s_wait_alu 0xfffe
	s_add_nc_u64 s[0:1], s[22:23], s[0:1]
	s_cbranch_vccnz .LBB0_10
; %bb.9:                                ;   in Loop: Header=BB0_4 Depth=1
	s_mov_b64 s[22:23], s[38:39]
	s_branch .LBB0_4
.LBB0_10:
	v_cmp_lt_u64_e64 s8, s[16:17], s[20:21]
	s_mov_b64 s[22:23], 0
	s_delay_alu instid0(VALU_DEP_1)
	s_and_b32 vcc_lo, exec_lo, s8
	s_cbranch_vccnz .LBB0_12
; %bb.11:
	v_cvt_f32_u32_e32 v1, s20
	s_sub_co_i32 s9, 0, s20
	s_mov_b32 s23, 0
	s_delay_alu instid0(VALU_DEP_1) | instskip(NEXT) | instid1(TRANS32_DEP_1)
	v_rcp_iflag_f32_e32 v1, v1
	v_mul_f32_e32 v1, 0x4f7ffffe, v1
	s_delay_alu instid0(VALU_DEP_1) | instskip(NEXT) | instid1(VALU_DEP_1)
	v_cvt_u32_f32_e32 v1, v1
	v_readfirstlane_b32 s8, v1
	s_delay_alu instid0(VALU_DEP_1) | instskip(NEXT) | instid1(SALU_CYCLE_1)
	s_mul_i32 s9, s9, s8
	s_mul_hi_u32 s9, s8, s9
	s_delay_alu instid0(SALU_CYCLE_1) | instskip(NEXT) | instid1(SALU_CYCLE_1)
	s_add_co_i32 s8, s8, s9
	s_mul_hi_u32 s8, s16, s8
	s_delay_alu instid0(SALU_CYCLE_1) | instskip(NEXT) | instid1(SALU_CYCLE_1)
	s_mul_i32 s9, s8, s20
	s_sub_co_i32 s9, s16, s9
	s_add_co_i32 s16, s8, 1
	s_sub_co_i32 s17, s9, s20
	s_cmp_ge_u32 s9, s20
	s_wait_alu 0xfffe
	s_cselect_b32 s8, s16, s8
	s_cselect_b32 s9, s17, s9
	s_add_co_i32 s16, s8, 1
	s_cmp_ge_u32 s9, s20
	s_wait_alu 0xfffe
	s_cselect_b32 s22, s16, s8
.LBB0_12:
	v_mul_u32_u24_e32 v1, 0x1c72, v0
	s_lshl_b64 s[8:9], s[24:25], 3
	s_delay_alu instid0(SALU_CYCLE_1) | instskip(SKIP_1) | instid1(VALU_DEP_1)
	s_add_nc_u64 s[8:9], s[10:11], s[8:9]
	s_load_b64 s[8:9], s[8:9], 0x0
	v_lshrrev_b32_e32 v5, 16, v1
	s_delay_alu instid0(VALU_DEP_1) | instskip(SKIP_1) | instid1(VALU_DEP_2)
	v_mul_lo_u16 v1, v5, 9
	v_mad_co_u64_u32 v[65:66], null, s4, v5, 0
	v_sub_nc_u16 v1, v0, v1
	s_delay_alu instid0(VALU_DEP_1) | instskip(NEXT) | instid1(VALU_DEP_1)
	v_dual_mov_b32 v1, v66 :: v_dual_and_b32 v94, 0xffff, v1
	v_mad_co_u64_u32 v[67:68], null, s6, v94, 0
	s_delay_alu instid0(VALU_DEP_2)
	v_mad_co_u64_u32 v[1:2], null, s5, v5, v[1:2]
	v_mov_b32_e32 v51, 0
	v_add_co_u32 v6, s6, s18, v94
	s_wait_alu 0xf1ff
	v_add_co_ci_u32_e64 v7, null, s19, 0, s6
	v_mov_b32_e32 v2, v68
	v_mov_b32_e32 v52, 0
	;; [unrolled: 1-line block ×3, first 2 shown]
	s_delay_alu instid0(VALU_DEP_4) | instskip(NEXT) | instid1(VALU_DEP_4)
	v_cmp_gt_u64_e32 vcc_lo, s[14:15], v[6:7]
	v_mad_co_u64_u32 v[2:3], null, s7, v94, v[2:3]
	s_add_nc_u64 s[6:7], s[18:19], 9
	v_dual_mov_b32 v3, v51 :: v_dual_mov_b32 v4, v52
	s_wait_alu 0xfffe
	v_cmp_le_u64_e64 s33, s[6:7], s[14:15]
	s_wait_kmcnt 0x0
	s_mul_u64 s[6:7], s[8:9], s[22:23]
	s_delay_alu instid0(VALU_DEP_3) | instskip(SKIP_4) | instid1(SALU_CYCLE_1)
	v_dual_mov_b32 v68, v2 :: v_dual_mov_b32 v1, v51
	v_mov_b32_e32 v2, v52
	s_wait_alu 0xfffe
	s_add_nc_u64 s[6:7], s[6:7], s[0:1]
	s_or_b32 s1, s33, vcc_lo
	s_and_saveexec_b32 s8, s1
	s_cbranch_execz .LBB0_14
; %bb.13:
	s_wait_alu 0xfffe
	v_add3_u32 v1, s6, v67, v65
	v_mov_b32_e32 v2, 0
	s_delay_alu instid0(VALU_DEP_1) | instskip(NEXT) | instid1(VALU_DEP_1)
	v_lshlrev_b64_e32 v[1:2], 4, v[1:2]
	v_add_co_u32 v1, s0, s2, v1
	s_delay_alu instid0(VALU_DEP_1)
	v_add_co_ci_u32_e64 v2, s0, s3, v2, s0
	global_load_b128 v[1:4], v[1:2], off
.LBB0_14:
	s_or_b32 exec_lo, exec_lo, s8
	v_mov_b32_e32 v49, v51
	v_dual_mov_b32 v50, v52 :: v_dual_and_b32 v93, 0xffff, v5
	s_and_saveexec_b32 s8, s1
	s_cbranch_execz .LBB0_16
; %bb.15:
	s_delay_alu instid0(VALU_DEP_1) | instskip(NEXT) | instid1(VALU_DEP_1)
	v_dual_mov_b32 v6, 0 :: v_dual_add_nc_u32 v5, 16, v93
	v_mul_lo_u32 v5, s4, v5
	s_wait_alu 0xfffe
	s_delay_alu instid0(VALU_DEP_1) | instskip(NEXT) | instid1(VALU_DEP_1)
	v_add3_u32 v5, s6, v67, v5
	v_lshlrev_b64_e32 v[5:6], 4, v[5:6]
	s_delay_alu instid0(VALU_DEP_1) | instskip(SKIP_1) | instid1(VALU_DEP_2)
	v_add_co_u32 v5, s0, s2, v5
	s_wait_alu 0xf1ff
	v_add_co_ci_u32_e64 v6, s0, s3, v6, s0
	global_load_b128 v[49:52], v[5:6], off
.LBB0_16:
	s_or_b32 exec_lo, exec_lo, s8
	v_mov_b32_e32 v39, 0
	v_mov_b32_e32 v40, 0
	s_delay_alu instid0(VALU_DEP_1)
	v_dual_mov_b32 v48, v40 :: v_dual_mov_b32 v47, v39
	v_dual_mov_b32 v46, v40 :: v_dual_mov_b32 v45, v39
	s_and_saveexec_b32 s8, s1
	s_cbranch_execz .LBB0_18
; %bb.17:
	v_or_b32_e32 v5, 32, v93
	v_mov_b32_e32 v6, 0
	s_delay_alu instid0(VALU_DEP_2) | instskip(SKIP_1) | instid1(VALU_DEP_1)
	v_mul_lo_u32 v5, s4, v5
	s_wait_alu 0xfffe
	v_add3_u32 v5, s6, v67, v5
	s_delay_alu instid0(VALU_DEP_1) | instskip(NEXT) | instid1(VALU_DEP_1)
	v_lshlrev_b64_e32 v[5:6], 4, v[5:6]
	v_add_co_u32 v5, s0, s2, v5
	s_wait_alu 0xf1ff
	s_delay_alu instid0(VALU_DEP_2)
	v_add_co_ci_u32_e64 v6, s0, s3, v6, s0
	global_load_b128 v[45:48], v[5:6], off
.LBB0_18:
	s_or_b32 exec_lo, exec_lo, s8
	v_dual_mov_b32 v37, v39 :: v_dual_mov_b32 v38, v40
	s_and_saveexec_b32 s8, s1
	s_cbranch_execz .LBB0_20
; %bb.19:
	v_dual_mov_b32 v6, 0 :: v_dual_add_nc_u32 v5, 48, v93
	s_delay_alu instid0(VALU_DEP_1) | instskip(SKIP_1) | instid1(VALU_DEP_1)
	v_mul_lo_u32 v5, s4, v5
	s_wait_alu 0xfffe
	v_add3_u32 v5, s6, v67, v5
	s_delay_alu instid0(VALU_DEP_1) | instskip(NEXT) | instid1(VALU_DEP_1)
	v_lshlrev_b64_e32 v[5:6], 4, v[5:6]
	v_add_co_u32 v5, s0, s2, v5
	s_wait_alu 0xf1ff
	s_delay_alu instid0(VALU_DEP_2)
	v_add_co_ci_u32_e64 v6, s0, s3, v6, s0
	global_load_b128 v[37:40], v[5:6], off
.LBB0_20:
	s_or_b32 exec_lo, exec_lo, s8
	v_mov_b32_e32 v27, 0
	v_mov_b32_e32 v28, 0
	s_delay_alu instid0(VALU_DEP_1)
	v_dual_mov_b32 v44, v28 :: v_dual_mov_b32 v43, v27
	v_dual_mov_b32 v42, v28 :: v_dual_mov_b32 v41, v27
	s_and_saveexec_b32 s8, s1
	s_cbranch_execz .LBB0_22
; %bb.21:
	v_or_b32_e32 v5, 64, v93
	v_mov_b32_e32 v6, 0
	s_delay_alu instid0(VALU_DEP_2) | instskip(SKIP_1) | instid1(VALU_DEP_1)
	v_mul_lo_u32 v5, s4, v5
	s_wait_alu 0xfffe
	v_add3_u32 v5, s6, v67, v5
	s_delay_alu instid0(VALU_DEP_1) | instskip(NEXT) | instid1(VALU_DEP_1)
	v_lshlrev_b64_e32 v[5:6], 4, v[5:6]
	v_add_co_u32 v5, s0, s2, v5
	s_wait_alu 0xf1ff
	s_delay_alu instid0(VALU_DEP_2)
	v_add_co_ci_u32_e64 v6, s0, s3, v6, s0
	global_load_b128 v[41:44], v[5:6], off
.LBB0_22:
	s_or_b32 exec_lo, exec_lo, s8
	v_dual_mov_b32 v25, v27 :: v_dual_mov_b32 v26, v28
	s_and_saveexec_b32 s8, s1
	s_cbranch_execz .LBB0_24
; %bb.23:
	v_dual_mov_b32 v6, 0 :: v_dual_add_nc_u32 v5, 0x50, v93
	s_delay_alu instid0(VALU_DEP_1) | instskip(SKIP_1) | instid1(VALU_DEP_1)
	v_mul_lo_u32 v5, s4, v5
	s_wait_alu 0xfffe
	v_add3_u32 v5, s6, v67, v5
	s_delay_alu instid0(VALU_DEP_1) | instskip(NEXT) | instid1(VALU_DEP_1)
	v_lshlrev_b64_e32 v[5:6], 4, v[5:6]
	v_add_co_u32 v5, s0, s2, v5
	s_wait_alu 0xf1ff
	s_delay_alu instid0(VALU_DEP_2)
	v_add_co_ci_u32_e64 v6, s0, s3, v6, s0
	global_load_b128 v[25:28], v[5:6], off
.LBB0_24:
	;; [unrolled: 41-line block ×5, first 2 shown]
	s_or_b32 exec_lo, exec_lo, s8
	v_mov_b32_e32 v11, 0
	v_mov_b32_e32 v12, 0
	s_delay_alu instid0(VALU_DEP_1)
	v_dual_mov_b32 v9, v11 :: v_dual_mov_b32 v10, v12
	s_and_saveexec_b32 s8, s1
	s_cbranch_execz .LBB0_38
; %bb.37:
	v_or_b32_e32 v9, 0xc0, v93
	v_mov_b32_e32 v10, 0
	s_delay_alu instid0(VALU_DEP_2) | instskip(SKIP_1) | instid1(VALU_DEP_1)
	v_mul_lo_u32 v9, s4, v9
	s_wait_alu 0xfffe
	v_add3_u32 v9, s6, v67, v9
	s_delay_alu instid0(VALU_DEP_1) | instskip(NEXT) | instid1(VALU_DEP_1)
	v_lshlrev_b64_e32 v[9:10], 4, v[9:10]
	v_add_co_u32 v9, s0, s2, v9
	s_wait_alu 0xf1ff
	s_delay_alu instid0(VALU_DEP_2)
	v_add_co_ci_u32_e64 v10, s0, s3, v10, s0
	global_load_b128 v[9:12], v[9:10], off
.LBB0_38:
	s_or_b32 exec_lo, exec_lo, s8
	s_wait_loadcnt 0x0
	v_add_f64_e32 v[53:54], v[1:2], v[49:50]
	v_add_f64_e32 v[55:56], v[3:4], v[51:52]
	v_add_f64_e64 v[59:60], v[51:52], -v[11:12]
	v_add_f64_e64 v[57:58], v[49:50], -v[9:10]
	;; [unrolled: 1-line block ×5, first 2 shown]
	v_add_f64_e32 v[71:72], v[37:38], v[13:14]
	v_add_f64_e32 v[85:86], v[41:42], v[17:18]
	v_add_f64_e64 v[83:84], v[41:42], -v[17:18]
	s_mov_b32 s26, 0x42a4c3d2
	s_mov_b32 s30, 0x66966769
	s_mov_b32 s22, 0x2ef20147
	s_mov_b32 s28, 0x24c2f84
	s_mov_b32 s24, 0x4bc48dbf
	s_mov_b32 s21, 0xbfddbe06
	s_mov_b32 s20, 0x4267c47c
	s_mov_b32 s27, 0xbfea55e2
	s_mov_b32 s31, 0xbfefc445
	s_mov_b32 s23, 0xbfedeba7
	s_mov_b32 s29, 0xbfe5384d
	s_mov_b32 s25, 0xbfcea1e5
	v_add_f64_e64 v[89:90], v[39:40], -v[15:16]
	v_add_f64_e32 v[69:70], v[39:40], v[15:16]
	v_add_f64_e32 v[81:82], v[43:44], v[19:20]
	v_add_f64_e64 v[91:92], v[43:44], -v[19:20]
	v_add_f64_e64 v[63:64], v[35:36], -v[23:24]
	s_mov_b32 s0, 0xe00740e9
	s_mov_b32 s8, 0x1ea71119
	;; [unrolled: 1-line block ×11, first 2 shown]
	v_add_f64_e32 v[53:54], v[53:54], v[45:46]
	v_add_f64_e32 v[55:56], v[55:56], v[47:48]
	s_wait_alu 0xfffe
	v_mul_f64_e32 v[95:96], s[30:31], v[59:60]
	v_mul_f64_e32 v[97:98], s[22:23], v[59:60]
	;; [unrolled: 1-line block ×9, first 2 shown]
	s_mov_b32 s19, 0xbfef11f4
	s_mov_b32 s37, 0x3fe5384d
	;; [unrolled: 1-line block ×11, first 2 shown]
	v_mul_f64_e32 v[111:112], s[22:23], v[75:76]
	v_mul_f64_e32 v[113:114], s[22:23], v[73:74]
	;; [unrolled: 1-line block ×6, first 2 shown]
	s_wait_alu 0xfffe
	v_mul_f64_e32 v[123:124], s[38:39], v[89:90]
	v_mul_f64_e32 v[125:126], s[38:39], v[87:88]
	;; [unrolled: 1-line block ×10, first 2 shown]
	v_add_f64_e32 v[61:62], v[53:54], v[37:38]
	v_add_f64_e32 v[55:56], v[55:56], v[39:40]
	;; [unrolled: 1-line block ×6, first 2 shown]
	v_add_f64_e64 v[45:46], v[25:26], -v[29:30]
	v_add_f64_e32 v[39:40], v[35:36], v[23:24]
	v_mul_f64_e32 v[143:144], s[28:29], v[89:90]
	v_mul_f64_e32 v[145:146], s[30:31], v[87:88]
	;; [unrolled: 1-line block ×11, first 2 shown]
	v_fma_f64 v[181:182], v[69:70], s[18:19], -v[117:118]
	v_fma_f64 v[117:118], v[69:70], s[18:19], v[117:118]
	v_fma_f64 v[187:188], v[71:72], s[14:15], v[123:124]
	v_fma_f64 v[189:190], v[69:70], s[14:15], -v[125:126]
	v_fma_f64 v[123:124], v[71:72], s[14:15], -v[123:124]
	v_fma_f64 v[125:126], v[69:70], s[14:15], v[125:126]
	v_fma_f64 v[203:204], v[71:72], s[10:11], v[139:140]
	v_fma_f64 v[139:140], v[71:72], s[10:11], -v[139:140]
	v_add_f64_e32 v[77:78], v[61:62], v[41:42]
	v_add_f64_e32 v[79:80], v[55:56], v[43:44]
	;; [unrolled: 1-line block ×4, first 2 shown]
	v_add_f64_e64 v[47:48], v[27:28], -v[31:32]
	v_add_f64_e32 v[43:44], v[33:34], v[21:22]
	v_add_f64_e64 v[61:62], v[33:34], -v[21:22]
	v_fma_f64 v[163:164], v[53:54], s[10:11], v[95:96]
	v_fma_f64 v[95:96], v[53:54], s[10:11], -v[95:96]
	v_fma_f64 v[165:166], v[53:54], s[14:15], v[97:98]
	v_fma_f64 v[97:98], v[53:54], s[14:15], -v[97:98]
	;; [unrolled: 2-line block ×3, first 2 shown]
	v_fma_f64 v[171:172], v[49:50], s[8:9], -v[103:104]
	v_fma_f64 v[103:104], v[49:50], s[8:9], v[103:104]
	v_fma_f64 v[173:174], v[49:50], s[10:11], -v[105:106]
	v_fma_f64 v[105:106], v[49:50], s[10:11], v[105:106]
	;; [unrolled: 2-line block ×5, first 2 shown]
	v_fma_f64 v[191:192], v[51:52], s[16:17], v[127:128]
	v_fma_f64 v[195:196], v[51:52], s[8:9], v[131:132]
	v_fma_f64 v[131:132], v[51:52], s[8:9], -v[131:132]
	v_fma_f64 v[119:120], v[51:52], s[18:19], -v[119:120]
	;; [unrolled: 1-line block ×3, first 2 shown]
	v_fma_f64 v[197:198], v[51:52], s[10:11], v[133:134]
	v_fma_f64 v[133:134], v[51:52], s[10:11], -v[133:134]
	v_fma_f64 v[205:206], v[71:72], s[8:9], v[141:142]
	v_fma_f64 v[141:142], v[71:72], s[8:9], -v[141:142]
	;; [unrolled: 2-line block ×3, first 2 shown]
	v_fma_f64 v[209:210], v[69:70], s[10:11], -v[145:146]
	v_fma_f64 v[145:146], v[69:70], s[10:11], v[145:146]
	v_fma_f64 v[213:214], v[85:86], s[16:17], v[149:150]
	v_fma_f64 v[149:150], v[85:86], s[16:17], -v[149:150]
	v_add_f64_e32 v[25:26], v[77:78], v[25:26]
	v_add_f64_e32 v[27:28], v[79:80], v[27:28]
	v_mul_f64_e32 v[77:78], s[20:21], v[59:60]
	v_mul_f64_e32 v[79:80], s[26:27], v[59:60]
	;; [unrolled: 1-line block ×3, first 2 shown]
	s_mov_b32 s21, 0x3fddbe06
	v_fma_f64 v[185:186], v[55:56], s[18:19], -v[121:122]
	s_wait_alu 0xfffe
	v_mul_f64_e32 v[89:90], s[20:21], v[89:90]
	v_mul_f64_e32 v[75:76], s[20:21], v[75:76]
	;; [unrolled: 1-line block ×3, first 2 shown]
	v_fma_f64 v[193:194], v[55:56], s[16:17], -v[129:130]
	v_fma_f64 v[199:200], v[55:56], s[8:9], -v[135:136]
	v_fma_f64 v[135:136], v[55:56], s[8:9], v[135:136]
	v_fma_f64 v[121:122], v[55:56], s[18:19], v[121:122]
	;; [unrolled: 1-line block ×3, first 2 shown]
	v_fma_f64 v[201:202], v[55:56], s[10:11], -v[137:138]
	v_fma_f64 v[137:138], v[55:56], s[10:11], v[137:138]
	v_add_f64_e32 v[171:172], v[3:4], v[171:172]
	v_add_f64_e32 v[103:104], v[3:4], v[103:104]
	;; [unrolled: 1-line block ×15, first 2 shown]
	v_fma_f64 v[221:222], v[81:82], s[14:15], -v[157:158]
	v_fma_f64 v[157:158], v[81:82], s[14:15], v[157:158]
	v_fma_f64 v[225:226], v[81:82], s[10:11], -v[215:216]
	v_fma_f64 v[215:216], v[81:82], s[10:11], v[215:216]
	;; [unrolled: 2-line block ×3, first 2 shown]
	v_add_f64_e32 v[25:26], v[25:26], v[33:34]
	v_add_f64_e32 v[27:28], v[27:28], v[35:36]
	v_mul_f64_e32 v[33:34], s[28:29], v[87:88]
	v_mul_f64_e32 v[35:36], s[22:23], v[91:92]
	;; [unrolled: 1-line block ×4, first 2 shown]
	v_fma_f64 v[159:160], v[53:54], s[0:1], v[77:78]
	v_fma_f64 v[77:78], v[53:54], s[0:1], -v[77:78]
	v_fma_f64 v[161:162], v[53:54], s[8:9], v[79:80]
	v_fma_f64 v[79:80], v[53:54], s[8:9], -v[79:80]
	;; [unrolled: 2-line block ×3, first 2 shown]
	v_fma_f64 v[59:60], v[49:50], s[0:1], -v[101:102]
	v_fma_f64 v[101:102], v[49:50], s[0:1], v[101:102]
	v_fma_f64 v[49:50], v[49:50], s[18:19], v[57:58]
	;; [unrolled: 1-line block ×3, first 2 shown]
	v_fma_f64 v[115:116], v[71:72], s[18:19], -v[115:116]
	v_fma_f64 v[229:230], v[81:82], s[8:9], -v[219:220]
	v_fma_f64 v[219:220], v[81:82], s[8:9], v[219:220]
	v_add_f64_e32 v[95:96], v[119:120], v[95:96]
	v_add_f64_e32 v[105:106], v[121:122], v[105:106]
	v_mul_f64_e32 v[119:120], s[28:29], v[63:64]
	v_mul_f64_e32 v[121:122], s[28:29], v[61:62]
	v_add_f64_e32 v[97:98], v[127:128], v[97:98]
	v_add_f64_e32 v[107:108], v[129:130], v[107:108]
	;; [unrolled: 1-line block ×3, first 2 shown]
	v_mul_f64_e32 v[127:128], s[42:43], v[47:48]
	v_add_f64_e32 v[99:100], v[133:134], v[99:100]
	v_add_f64_e32 v[109:110], v[137:138], v[109:110]
	v_mul_f64_e32 v[129:130], s[42:43], v[45:46]
	v_mul_f64_e32 v[133:134], s[28:29], v[47:48]
	;; [unrolled: 1-line block ×3, first 2 shown]
	v_add_f64_e32 v[21:22], v[25:26], v[21:22]
	v_add_f64_e32 v[23:24], v[27:28], v[23:24]
	v_fma_f64 v[25:26], v[51:52], s[14:15], v[111:112]
	v_fma_f64 v[27:28], v[55:56], s[14:15], -v[113:114]
	v_fma_f64 v[111:112], v[51:52], s[14:15], -v[111:112]
	v_fma_f64 v[113:114], v[55:56], s[14:15], v[113:114]
	v_fma_f64 v[211:212], v[85:86], s[14:15], v[35:36]
	v_fma_f64 v[35:36], v[85:86], s[14:15], -v[35:36]
	v_add_f64_e32 v[159:160], v[1:2], v[159:160]
	v_add_f64_e32 v[77:78], v[1:2], v[77:78]
	;; [unrolled: 1-line block ×9, first 2 shown]
	v_fma_f64 v[49:50], v[85:86], s[10:11], v[151:152]
	v_fma_f64 v[53:54], v[85:86], s[10:11], -v[151:152]
	v_fma_f64 v[151:152], v[85:86], s[18:19], v[153:154]
	v_fma_f64 v[153:154], v[85:86], s[18:19], -v[153:154]
	v_add_f64_e32 v[95:96], v[123:124], v[95:96]
	v_add_f64_e32 v[105:106], v[125:126], v[105:106]
	;; [unrolled: 1-line block ×4, first 2 shown]
	v_fma_f64 v[123:124], v[37:38], s[18:19], -v[129:130]
	v_fma_f64 v[141:142], v[41:42], s[14:15], v[137:138]
	v_fma_f64 v[137:138], v[41:42], s[14:15], -v[137:138]
	v_add_f64_e32 v[21:22], v[21:22], v[29:30]
	v_add_f64_e32 v[23:24], v[23:24], v[31:32]
	v_fma_f64 v[29:30], v[69:70], s[8:9], -v[147:148]
	v_fma_f64 v[31:32], v[69:70], s[8:9], v[147:148]
	v_fma_f64 v[147:148], v[69:70], s[16:17], -v[33:34]
	v_fma_f64 v[33:34], v[69:70], s[16:17], v[33:34]
	v_add_f64_e32 v[27:28], v[27:28], v[171:172]
	v_add_f64_e32 v[103:104], v[113:114], v[103:104]
	;; [unrolled: 1-line block ×10, first 2 shown]
	v_mul_f64_e32 v[131:132], s[34:35], v[47:48]
	v_mul_f64_e32 v[135:136], s[34:35], v[45:46]
	;; [unrolled: 1-line block ×7, first 2 shown]
	v_add_f64_e32 v[17:18], v[21:22], v[17:18]
	v_add_f64_e32 v[19:20], v[23:24], v[19:20]
	v_fma_f64 v[21:22], v[85:86], s[8:9], v[155:156]
	v_fma_f64 v[23:24], v[85:86], s[8:9], -v[155:156]
	v_fma_f64 v[155:156], v[51:52], s[0:1], v[75:76]
	v_fma_f64 v[51:52], v[51:52], s[0:1], -v[75:76]
	v_fma_f64 v[75:76], v[55:56], s[0:1], -v[73:74]
	v_fma_f64 v[55:56], v[55:56], s[0:1], v[73:74]
	v_fma_f64 v[73:74], v[71:72], s[0:1], v[89:90]
	v_fma_f64 v[71:72], v[71:72], s[0:1], -v[89:90]
	v_fma_f64 v[89:90], v[69:70], s[0:1], -v[87:88]
	v_fma_f64 v[69:70], v[69:70], s[0:1], v[87:88]
	v_fma_f64 v[87:88], v[85:86], s[0:1], v[91:92]
	v_fma_f64 v[85:86], v[85:86], s[0:1], -v[91:92]
	v_mul_f64_e32 v[91:92], s[36:37], v[83:84]
	v_mul_f64_e32 v[83:84], s[20:21], v[83:84]
	v_add_f64_e32 v[25:26], v[57:58], v[25:26]
	v_add_f64_e32 v[27:28], v[181:182], v[27:28]
	;; [unrolled: 1-line block ×11, first 2 shown]
	v_mul_f64_e32 v[57:58], s[34:35], v[63:64]
	v_mul_f64_e32 v[181:182], s[34:35], v[61:62]
	v_fma_f64 v[185:186], v[41:42], s[8:9], v[111:112]
	v_fma_f64 v[117:118], v[41:42], s[18:19], v[127:128]
	v_fma_f64 v[111:112], v[41:42], s[8:9], -v[111:112]
	v_fma_f64 v[127:128], v[41:42], s[18:19], -v[127:128]
	v_fma_f64 v[139:140], v[43:44], s[16:17], v[119:120]
	v_fma_f64 v[115:116], v[39:40], s[16:17], -v[121:122]
	v_fma_f64 v[125:126], v[43:44], s[8:9], v[171:172]
	v_fma_f64 v[121:122], v[39:40], s[16:17], v[121:122]
	v_add_f64_e32 v[13:14], v[17:18], v[13:14]
	v_add_f64_e32 v[15:16], v[19:20], v[15:16]
	v_fma_f64 v[19:20], v[37:38], s[10:11], v[135:136]
	v_add_f64_e32 v[155:156], v[155:156], v[169:170]
	v_add_f64_e32 v[1:2], v[51:52], v[1:2]
	;; [unrolled: 1-line block ×4, first 2 shown]
	v_mul_f64_e32 v[169:170], s[28:29], v[45:46]
	v_mul_f64_e32 v[45:46], s[20:21], v[45:46]
	v_add_f64_e32 v[71:72], v[71:72], v[97:98]
	v_add_f64_e32 v[69:70], v[69:70], v[107:108]
	v_mul_f64_e32 v[51:52], s[24:25], v[63:64]
	v_mul_f64_e32 v[55:56], s[22:23], v[63:64]
	v_fma_f64 v[223:224], v[81:82], s[16:17], -v[91:92]
	v_fma_f64 v[91:92], v[81:82], s[16:17], v[91:92]
	v_fma_f64 v[231:232], v[81:82], s[0:1], -v[83:84]
	v_fma_f64 v[81:82], v[81:82], s[0:1], v[83:84]
	v_add_f64_e32 v[83:84], v[183:184], v[163:164]
	v_add_f64_e32 v[163:164], v[191:192], v[165:166]
	;; [unrolled: 1-line block ×3, first 2 shown]
	v_mul_f64_e32 v[175:176], s[40:41], v[61:62]
	v_mul_f64_e32 v[179:180], s[22:23], v[61:62]
	;; [unrolled: 1-line block ×5, first 2 shown]
	v_fma_f64 v[107:108], v[41:42], s[16:17], v[133:134]
	v_fma_f64 v[133:134], v[41:42], s[16:17], -v[133:134]
	v_add_f64_e32 v[25:26], v[213:214], v[25:26]
	v_add_f64_e32 v[59:60], v[221:222], v[59:60]
	;; [unrolled: 1-line block ×13, first 2 shown]
	v_fma_f64 v[33:34], v[37:38], s[16:17], -v[169:170]
	v_fma_f64 v[17:18], v[37:38], s[16:17], v[169:170]
	v_add_f64_e32 v[143:144], v[211:212], v[159:160]
	v_add_f64_e32 v[53:54], v[53:54], v[71:72]
	;; [unrolled: 1-line block ×11, first 2 shown]
	v_fma_f64 v[163:164], v[41:42], s[10:11], v[131:132]
	v_fma_f64 v[165:166], v[37:38], s[10:11], -v[135:136]
	v_fma_f64 v[187:188], v[37:38], s[8:9], -v[113:114]
	;; [unrolled: 1-line block ×3, first 2 shown]
	v_fma_f64 v[135:136], v[41:42], s[0:1], v[47:48]
	v_fma_f64 v[41:42], v[41:42], s[0:1], -v[47:48]
	v_fma_f64 v[47:48], v[37:38], s[0:1], -v[45:46]
	v_fma_f64 v[45:46], v[37:38], s[0:1], v[45:46]
	v_add_f64_e32 v[99:100], v[157:158], v[101:102]
	v_fma_f64 v[97:98], v[39:40], s[8:9], -v[175:176]
	v_fma_f64 v[95:96], v[39:40], s[0:1], -v[61:62]
	v_fma_f64 v[101:102], v[43:44], s[18:19], v[51:52]
	v_fma_f64 v[51:52], v[43:44], s[18:19], -v[51:52]
	v_fma_f64 v[103:104], v[43:44], s[16:17], -v[119:120]
	;; [unrolled: 1-line block ×3, first 2 shown]
	v_fma_f64 v[119:120], v[39:40], s[14:15], v[179:180]
	v_fma_f64 v[61:62], v[39:40], s[0:1], v[61:62]
	v_add_f64_e32 v[21:22], v[21:22], v[109:110]
	v_add_f64_e32 v[1:2], v[23:24], v[1:2]
	;; [unrolled: 1-line block ×4, first 2 shown]
	v_fma_f64 v[23:24], v[43:44], s[0:1], v[63:64]
	v_fma_f64 v[109:110], v[43:44], s[14:15], v[55:56]
	v_fma_f64 v[55:56], v[43:44], s[14:15], -v[55:56]
	v_add_f64_e32 v[59:60], v[33:34], v[59:60]
	v_add_f64_e32 v[53:54], v[127:128], v[53:54]
	v_fma_f64 v[127:128], v[39:40], s[18:19], -v[183:184]
	v_add_f64_e32 v[83:84], v[87:88], v[83:84]
	v_add_f64_e32 v[87:88], v[231:232], v[161:162]
	;; [unrolled: 1-line block ×4, first 2 shown]
	v_fma_f64 v[89:90], v[37:38], s[8:9], v[113:114]
	v_fma_f64 v[113:114], v[37:38], s[18:19], v[129:130]
	v_fma_f64 v[129:130], v[37:38], s[14:15], -v[177:178]
	v_fma_f64 v[37:38], v[37:38], s[14:15], v[177:178]
	v_add_f64_e32 v[25:26], v[163:164], v[25:26]
	v_add_f64_e32 v[27:28], v[165:166], v[27:28]
	;; [unrolled: 1-line block ×7, first 2 shown]
	v_fma_f64 v[91:92], v[39:40], s[10:11], -v[181:182]
	v_add_f64_e32 v[99:100], v[17:18], v[99:100]
	v_add_f64_e32 v[83:84], v[185:186], v[83:84]
	;; [unrolled: 1-line block ×5, first 2 shown]
	v_fma_f64 v[117:118], v[43:44], s[10:11], v[57:58]
	v_fma_f64 v[57:58], v[43:44], s[10:11], -v[57:58]
	v_fma_f64 v[43:44], v[43:44], s[0:1], -v[63:64]
	v_add_f64_e32 v[63:64], v[107:108], v[143:144]
	v_add_f64_e32 v[107:108], v[133:134], v[35:36]
	;; [unrolled: 1-line block ×7, first 2 shown]
	v_fma_f64 v[85:86], v[39:40], s[14:15], -v[179:180]
	v_add_f64_e32 v[75:76], v[129:130], v[75:76]
	v_add_f64_e32 v[89:90], v[137:138], v[1:2]
	;; [unrolled: 1-line block ×3, first 2 shown]
	v_fma_f64 v[113:114], v[39:40], s[10:11], v[181:182]
	v_fma_f64 v[123:124], v[39:40], s[8:9], v[175:176]
	;; [unrolled: 1-line block ×3, first 2 shown]
	v_add_f64_e32 v[1:2], v[5:6], v[9:10]
	v_add_f64_e32 v[3:4], v[7:8], v[11:12]
	;; [unrolled: 1-line block ×8, first 2 shown]
	v_cmp_gt_u32_e64 s0, 0x75, v0
                                        ; implicit-def: $vgpr55_vgpr56
                                        ; implicit-def: $vgpr59_vgpr60
	v_add_f64_e32 v[13:14], v[139:140], v[83:84]
	v_add_f64_e32 v[15:16], v[115:116], v[87:88]
	;; [unrolled: 1-line block ×15, first 2 shown]
	v_mad_u32_u24 v53, 0x750, v93, 0
	v_add_f64_e32 v[31:32], v[113:114], v[111:112]
	v_add_f64_e32 v[35:36], v[123:124], v[69:70]
	;; [unrolled: 1-line block ×3, first 2 shown]
                                        ; implicit-def: $vgpr63_vgpr64
	s_delay_alu instid0(VALU_DEP_4)
	v_lshl_add_u32 v54, v94, 4, v53
	ds_store_b128 v54, v[9:12] offset:288
	ds_store_b128 v54, v[13:16] offset:432
	;; [unrolled: 1-line block ×11, first 2 shown]
	ds_store_b128 v54, v[1:4]
	ds_store_b128 v54, v[49:52] offset:1728
	global_wb scope:SCOPE_SE
	s_wait_dscnt 0x0
	s_barrier_signal -1
	s_barrier_wait -1
	global_inv scope:SCOPE_SE
	s_and_saveexec_b32 s1, s0
	s_cbranch_execz .LBB0_40
; %bb.39:
	v_mul_i32_i24_e32 v0, 0xfffff940, v93
	v_lshlrev_b32_e32 v1, 4, v94
	s_delay_alu instid0(VALU_DEP_1)
	v_add3_u32 v0, v53, v0, v1
	ds_load_b128 v[1:4], v0
	ds_load_b128 v[5:8], v0 offset:1872
	ds_load_b128 v[9:12], v0 offset:3744
	;; [unrolled: 1-line block ×15, first 2 shown]
.LBB0_40:
	s_wait_alu 0xfffe
	s_or_b32 exec_lo, exec_lo, s1
	v_mul_lo_u16 v0, v93, 20
	s_mov_b32 s8, 0x667f3bcd
	s_mov_b32 s9, 0xbfe6a09e
	;; [unrolled: 1-line block ×3, first 2 shown]
	s_wait_alu 0xfffe
	s_mov_b32 s10, s8
	v_lshrrev_b16 v0, 8, v0
	s_mov_b32 s14, 0xa6aea964
	s_mov_b32 s15, 0x3fd87de2
	;; [unrolled: 1-line block ×4, first 2 shown]
	v_mul_lo_u16 v0, v0, 13
	s_wait_alu 0xfffe
	s_mov_b32 s16, s14
	v_lshlrev_b64_e32 v[67:68], 4, v[67:68]
	s_and_b32 s1, s0, s33
	v_sub_nc_u16 v0, v93, v0
	s_delay_alu instid0(VALU_DEP_1) | instskip(NEXT) | instid1(VALU_DEP_1)
	v_mul_lo_u16 v0, v0, 15
	v_and_b32_e32 v0, 0xff, v0
	s_delay_alu instid0(VALU_DEP_1)
	v_lshlrev_b32_e32 v0, 4, v0
	s_clause 0xe
	global_load_b128 v[69:72], v0, s[12:13]
	global_load_b128 v[73:76], v0, s[12:13] offset:16
	global_load_b128 v[77:80], v0, s[12:13] offset:32
	;; [unrolled: 1-line block ×14, first 2 shown]
	s_mov_b32 s12, 0xcf328d46
	s_mov_b32 s13, 0xbfed906b
	;; [unrolled: 1-line block ×3, first 2 shown]
	s_wait_loadcnt_dscnt 0xe0e
	v_mul_f64_e32 v[130:131], v[7:8], v[71:72]
	v_mul_f64_e32 v[71:72], v[5:6], v[71:72]
	s_wait_loadcnt_dscnt 0xd0d
	v_mul_f64_e32 v[132:133], v[11:12], v[75:76]
	v_mul_f64_e32 v[75:76], v[9:10], v[75:76]
	;; [unrolled: 3-line block ×9, first 2 shown]
	s_wait_loadcnt 0x5
	v_mul_f64_e32 v[148:149], v[43:44], v[108:109]
	v_mul_f64_e32 v[108:109], v[41:42], v[108:109]
	s_wait_loadcnt_dscnt 0x401
	v_mul_f64_e32 v[150:151], v[59:60], v[112:113]
	v_mul_f64_e32 v[112:113], v[57:58], v[112:113]
	s_wait_loadcnt 0x3
	v_mul_f64_e32 v[152:153], v[35:36], v[116:117]
	v_mul_f64_e32 v[116:117], v[33:34], v[116:117]
	s_wait_loadcnt 0x2
	;; [unrolled: 3-line block ×3, first 2 shown]
	v_mul_f64_e32 v[156:157], v[47:48], v[124:125]
	v_mul_f64_e32 v[124:125], v[45:46], v[124:125]
	s_wait_loadcnt_dscnt 0x0
	v_mul_f64_e32 v[158:159], v[61:62], v[128:129]
	v_mul_f64_e32 v[128:129], v[63:64], v[128:129]
	v_fma_f64 v[5:6], v[5:6], v[69:70], v[130:131]
	v_fma_f64 v[7:8], v[7:8], v[69:70], -v[71:72]
	v_fma_f64 v[9:10], v[9:10], v[73:74], v[132:133]
	v_fma_f64 v[11:12], v[11:12], v[73:74], -v[75:76]
	;; [unrolled: 2-line block ×14, first 2 shown]
	v_fma_f64 v[63:64], v[63:64], v[126:127], -v[158:159]
	v_fma_f64 v[61:62], v[61:62], v[126:127], v[128:129]
	v_add_f64_e64 v[37:38], v[1:2], -v[37:38]
	v_add_f64_e64 v[39:40], v[3:4], -v[39:40]
	v_add_f64_e64 v[49:50], v[17:18], -v[49:50]
	v_add_f64_e64 v[51:52], v[19:20], -v[51:52]
	v_add_f64_e64 v[41:42], v[9:10], -v[41:42]
	v_add_f64_e64 v[43:44], v[11:12], -v[43:44]
	v_add_f64_e64 v[57:58], v[25:26], -v[57:58]
	v_add_f64_e64 v[59:60], v[27:28], -v[59:60]
	v_add_f64_e64 v[33:34], v[5:6], -v[33:34]
	v_add_f64_e64 v[35:36], v[7:8], -v[35:36]
	v_add_f64_e64 v[53:54], v[21:22], -v[53:54]
	v_add_f64_e64 v[55:56], v[23:24], -v[55:56]
	v_add_f64_e64 v[45:46], v[13:14], -v[45:46]
	v_add_f64_e64 v[47:48], v[15:16], -v[47:48]
	v_add_f64_e64 v[63:64], v[31:32], -v[63:64]
	v_add_f64_e64 v[61:62], v[29:30], -v[61:62]
	v_fma_f64 v[0:1], v[1:2], 2.0, -v[37:38]
	v_fma_f64 v[2:3], v[3:4], 2.0, -v[39:40]
	v_add_f64_e64 v[71:72], v[39:40], -v[49:50]
	v_add_f64_e32 v[69:70], v[37:38], v[51:52]
	v_fma_f64 v[17:18], v[17:18], 2.0, -v[49:50]
	v_fma_f64 v[19:20], v[19:20], 2.0, -v[51:52]
	v_add_f64_e64 v[75:76], v[43:44], -v[57:58]
	v_add_f64_e32 v[73:74], v[41:42], v[59:60]
	;; [unrolled: 4-line block ×3, first 2 shown]
	v_fma_f64 v[25:26], v[25:26], 2.0, -v[57:58]
	v_fma_f64 v[27:28], v[27:28], 2.0, -v[59:60]
	v_add_f64_e32 v[81:82], v[45:46], v[63:64]
	v_add_f64_e64 v[83:84], v[47:48], -v[61:62]
	v_fma_f64 v[4:5], v[5:6], 2.0, -v[33:34]
	v_fma_f64 v[6:7], v[7:8], 2.0, -v[35:36]
	;; [unrolled: 1-line block ×10, first 2 shown]
	v_add_f64_e64 v[17:18], v[0:1], -v[17:18]
	v_add_f64_e64 v[19:20], v[2:3], -v[19:20]
	v_fma_f64 v[43:44], v[43:44], 2.0, -v[75:76]
	v_fma_f64 v[41:42], v[41:42], 2.0, -v[73:74]
	v_fma_f64 v[49:50], v[73:74], s[10:11], v[69:70]
	v_fma_f64 v[51:52], v[75:76], s[10:11], v[71:72]
	v_fma_f64 v[35:36], v[35:36], 2.0, -v[79:80]
	v_fma_f64 v[33:34], v[33:34], 2.0, -v[77:78]
	v_add_f64_e64 v[25:26], v[9:10], -v[25:26]
	v_add_f64_e64 v[27:28], v[11:12], -v[27:28]
	v_fma_f64 v[45:46], v[45:46], 2.0, -v[81:82]
	v_fma_f64 v[47:48], v[47:48], 2.0, -v[83:84]
	v_fma_f64 v[53:54], v[81:82], s[10:11], v[77:78]
	v_fma_f64 v[55:56], v[83:84], s[10:11], v[79:80]
	v_add_f64_e64 v[21:22], v[4:5], -v[21:22]
	v_add_f64_e64 v[23:24], v[6:7], -v[23:24]
	;; [unrolled: 1-line block ×4, first 2 shown]
	v_fma_f64 v[0:1], v[0:1], 2.0, -v[17:18]
	v_fma_f64 v[2:3], v[2:3], 2.0, -v[19:20]
	v_fma_f64 v[59:60], v[43:44], s[8:9], v[39:40]
	v_fma_f64 v[57:58], v[41:42], s[8:9], v[37:38]
	;; [unrolled: 1-line block ×4, first 2 shown]
	v_fma_f64 v[8:9], v[9:10], 2.0, -v[25:26]
	v_fma_f64 v[10:11], v[11:12], 2.0, -v[27:28]
	v_fma_f64 v[61:62], v[45:46], s[8:9], v[33:34]
	v_fma_f64 v[63:64], v[47:48], s[8:9], v[35:36]
	v_add_f64_e32 v[85:86], v[17:18], v[27:28]
	v_add_f64_e64 v[87:88], v[19:20], -v[25:26]
	v_fma_f64 v[4:5], v[4:5], 2.0, -v[21:22]
	v_fma_f64 v[6:7], v[6:7], 2.0, -v[23:24]
	v_fma_f64 v[51:52], v[83:84], s[10:11], v[53:54]
	v_fma_f64 v[12:13], v[13:14], 2.0, -v[29:30]
	v_fma_f64 v[14:15], v[15:16], 2.0, -v[31:32]
	v_add_f64_e32 v[25:26], v[21:22], v[31:32]
	v_add_f64_e64 v[27:28], v[23:24], -v[29:30]
	v_fma_f64 v[29:30], v[81:82], s[8:9], v[55:56]
	v_fma_f64 v[56:57], v[43:44], s[10:11], v[57:58]
	;; [unrolled: 1-line block ×3, first 2 shown]
	v_fma_f64 v[69:70], v[69:70], 2.0, -v[49:50]
	v_fma_f64 v[71:72], v[71:72], 2.0, -v[73:74]
	v_add_f64_e64 v[53:54], v[2:3], -v[10:11]
	v_fma_f64 v[31:32], v[47:48], s[10:11], v[61:62]
	v_fma_f64 v[44:45], v[45:46], s[8:9], v[63:64]
	v_add_f64_e64 v[46:47], v[0:1], -v[8:9]
	v_fma_f64 v[58:59], v[17:18], 2.0, -v[85:86]
	v_fma_f64 v[75:76], v[19:20], 2.0, -v[87:88]
	v_lshlrev_b64_e32 v[64:65], 4, v[65:66]
	v_fma_f64 v[18:19], v[77:78], 2.0, -v[51:52]
	v_add_nc_u32_e32 v66, 0xc3, v93
	v_add_f64_e64 v[10:11], v[4:5], -v[12:13]
	v_add_f64_e64 v[8:9], v[6:7], -v[14:15]
	v_fma_f64 v[12:13], v[21:22], 2.0, -v[25:26]
	v_fma_f64 v[14:15], v[23:24], 2.0, -v[27:28]
	;; [unrolled: 1-line block ×3, first 2 shown]
	v_fma_f64 v[20:21], v[25:26], s[10:11], v[85:86]
	v_fma_f64 v[22:23], v[27:28], s[10:11], v[87:88]
	s_wait_alu 0xfffe
	v_fma_f64 v[102:103], v[29:30], s[18:19], v[73:74]
	v_fma_f64 v[77:78], v[37:38], 2.0, -v[56:57]
	v_fma_f64 v[38:39], v[39:40], 2.0, -v[42:43]
	v_fma_f64 v[40:41], v[51:52], s[18:19], v[49:50]
	v_fma_f64 v[62:63], v[2:3], 2.0, -v[53:54]
	v_fma_f64 v[33:34], v[33:34], 2.0, -v[31:32]
	;; [unrolled: 1-line block ×4, first 2 shown]
	v_fma_f64 v[94:95], v[31:32], s[14:15], v[56:57]
	v_fma_f64 v[96:97], v[44:45], s[14:15], v[42:43]
	v_fma_f64 v[89:90], v[18:19], s[16:17], v[69:70]
	v_fma_f64 v[2:3], v[4:5], 2.0, -v[10:11]
	v_fma_f64 v[79:80], v[6:7], 2.0, -v[8:9]
	v_fma_f64 v[81:82], v[12:13], s[8:9], v[58:59]
	v_fma_f64 v[83:84], v[14:15], s[8:9], v[75:76]
	;; [unrolled: 1-line block ×3, first 2 shown]
	v_add_f64_e32 v[8:9], v[46:47], v[8:9]
	v_add_f64_e64 v[10:11], v[53:54], -v[10:11]
	v_fma_f64 v[4:5], v[27:28], s[10:11], v[20:21]
	v_fma_f64 v[6:7], v[25:26], s[8:9], v[22:23]
	;; [unrolled: 1-line block ×6, first 2 shown]
	v_add_f64_e64 v[24:25], v[60:61], -v[2:3]
	v_add_f64_e64 v[26:27], v[62:63], -v[79:80]
	v_fma_f64 v[20:21], v[14:15], s[10:11], v[81:82]
	v_fma_f64 v[22:23], v[12:13], s[8:9], v[83:84]
	;; [unrolled: 1-line block ×6, first 2 shown]
	v_fma_f64 v[44:45], v[46:47], 2.0, -v[8:9]
	v_fma_f64 v[46:47], v[53:54], 2.0, -v[10:11]
	v_add_nc_u32_e32 v82, 13, v93
	v_add_nc_u32_e32 v80, 26, v93
	v_add_nc_u32_e32 v81, 39, v93
	v_add_nc_u32_e32 v79, 52, v93
	v_fma_f64 v[28:29], v[35:36], s[14:15], v[98:99]
	v_fma_f64 v[30:31], v[33:34], s[16:17], v[100:101]
	v_fma_f64 v[32:33], v[85:86], 2.0, -v[4:5]
	v_fma_f64 v[34:35], v[87:88], 2.0, -v[6:7]
	;; [unrolled: 1-line block ×4, first 2 shown]
	v_add_nc_u32_e32 v70, 0x9c, v93
	v_fma_f64 v[60:61], v[60:61], 2.0, -v[24:25]
	v_fma_f64 v[62:63], v[62:63], 2.0, -v[26:27]
	;; [unrolled: 1-line block ×7, first 2 shown]
	v_add_nc_u32_e32 v76, 0x4e, v93
	v_add_nc_u32_e32 v75, 0x68, v93
	;; [unrolled: 1-line block ×5, first 2 shown]
	v_fma_f64 v[56:57], v[77:78], 2.0, -v[28:29]
	v_fma_f64 v[58:59], v[38:39], 2.0, -v[30:31]
	;; [unrolled: 1-line block ×3, first 2 shown]
	v_add_nc_u32_e32 v78, 0x41, v93
	v_add_nc_u32_e32 v77, 0x5b, v93
	;; [unrolled: 1-line block ×4, first 2 shown]
	s_and_saveexec_b32 s8, s1
	s_cbranch_execz .LBB0_42
; %bb.41:
	v_mad_co_u64_u32 v[83:84], null, s4, v82, 0
	v_mad_co_u64_u32 v[85:86], null, s4, v80, 0
	;; [unrolled: 1-line block ×3, first 2 shown]
	s_lshl_b64 s[10:11], s[6:7], 4
	s_wait_alu 0xfffe
	s_add_nc_u64 s[10:11], s[2:3], s[10:11]
	s_delay_alu instid0(VALU_DEP_2) | instskip(NEXT) | instid1(VALU_DEP_2)
	v_mad_co_u64_u32 v[89:90], null, s5, v82, v[84:85]
	v_mad_co_u64_u32 v[92:93], null, s5, v80, v[86:87]
	;; [unrolled: 1-line block ×3, first 2 shown]
	s_wait_alu 0xfffe
	v_add_co_u32 v100, s1, s10, v67
	s_wait_alu 0xf1ff
	v_add_co_ci_u32_e64 v101, s1, s11, v68, s1
	v_mov_b32_e32 v84, v89
	s_delay_alu instid0(VALU_DEP_3)
	v_add_co_u32 v90, s1, v100, v64
	v_mad_co_u64_u32 v[88:89], null, s5, v81, v[88:89]
	v_mov_b32_e32 v89, v94
	s_wait_alu 0xf1ff
	v_add_co_ci_u32_e64 v91, s1, v101, v65, s1
	v_lshlrev_b64_e32 v[83:84], 4, v[83:84]
	global_store_b128 v[90:91], v[60:63], off
	v_mad_co_u64_u32 v[89:90], null, s5, v79, v[89:90]
	v_mad_co_u64_u32 v[90:91], null, s4, v78, 0
	v_add_co_u32 v83, s1, v100, v83
	v_mov_b32_e32 v86, v92
	s_wait_alu 0xf1ff
	v_add_co_ci_u32_e64 v84, s1, v101, v84, s1
	v_lshlrev_b64_e32 v[87:88], 4, v[87:88]
	v_mov_b32_e32 v94, v89
	global_store_b128 v[83:84], v[56:59], off
	v_mov_b32_e32 v83, v91
	v_lshlrev_b64_e32 v[85:86], 4, v[85:86]
	s_delay_alu instid0(VALU_DEP_1) | instskip(SKIP_1) | instid1(VALU_DEP_2)
	v_add_co_u32 v85, s1, v100, v85
	s_wait_alu 0xf1ff
	v_add_co_ci_u32_e64 v86, s1, v101, v86, s1
	v_add_co_u32 v87, s1, v100, v87
	s_wait_alu 0xf1ff
	v_add_co_ci_u32_e64 v88, s1, v101, v88, s1
	s_clause 0x1
	global_store_b128 v[85:86], v[48:51], off
	global_store_b128 v[87:88], v[52:55], off
	v_lshlrev_b64_e32 v[84:85], 4, v[93:94]
	v_mad_co_u64_u32 v[92:93], null, s4, v77, 0
	v_mad_co_u64_u32 v[94:95], null, s4, v75, 0
	s_delay_alu instid0(VALU_DEP_3) | instskip(SKIP_4) | instid1(VALU_DEP_4)
	v_mad_co_u64_u32 v[86:87], null, s5, v78, v[83:84]
	v_mad_co_u64_u32 v[87:88], null, s4, v76, 0
	v_add_co_u32 v83, s1, v100, v84
	s_wait_alu 0xf1ff
	v_add_co_ci_u32_e64 v84, s1, v101, v85, s1
	v_mov_b32_e32 v91, v86
	s_delay_alu instid0(VALU_DEP_4)
	v_mov_b32_e32 v85, v88
	global_store_b128 v[83:84], v[44:47], off
	v_lshlrev_b64_e32 v[88:89], 4, v[90:91]
	v_mad_co_u64_u32 v[90:91], null, s4, v74, 0
	v_mad_co_u64_u32 v[84:85], null, s5, v76, v[85:86]
	v_mov_b32_e32 v83, v93
	s_delay_alu instid0(VALU_DEP_1)
	v_mad_co_u64_u32 v[85:86], null, s5, v77, v[83:84]
	v_mov_b32_e32 v83, v95
	v_add_co_u32 v95, s1, v100, v88
	v_mov_b32_e32 v88, v84
	s_wait_alu 0xf1ff
	v_add_co_ci_u32_e64 v96, s1, v101, v89, s1
	v_mov_b32_e32 v93, v85
	v_mad_co_u64_u32 v[83:84], null, s5, v75, v[83:84]
	v_mov_b32_e32 v84, v91
	v_lshlrev_b64_e32 v[85:86], 4, v[87:88]
	s_delay_alu instid0(VALU_DEP_4)
	v_lshlrev_b64_e32 v[87:88], 4, v[92:93]
	global_store_b128 v[95:96], v[40:43], off
	v_mov_b32_e32 v95, v83
	v_mad_co_u64_u32 v[91:92], null, s5, v74, v[84:85]
	v_mad_co_u64_u32 v[92:93], null, s4, v73, 0
	v_add_co_u32 v83, s1, v100, v85
	s_wait_alu 0xf1ff
	v_add_co_ci_u32_e64 v84, s1, v101, v86, s1
	v_lshlrev_b64_e32 v[85:86], 4, v[94:95]
	v_lshlrev_b64_e32 v[90:91], 4, v[90:91]
	v_mov_b32_e32 v89, v93
	v_add_co_u32 v87, s1, v100, v87
	s_wait_alu 0xf1ff
	v_add_co_ci_u32_e64 v88, s1, v101, v88, s1
	v_add_co_u32 v85, s1, v100, v85
	v_mad_co_u64_u32 v[93:94], null, s5, v73, v[89:90]
	s_wait_alu 0xf1ff
	v_add_co_ci_u32_e64 v86, s1, v101, v86, s1
	v_mad_co_u64_u32 v[94:95], null, s4, v72, 0
	v_add_co_u32 v89, s1, v100, v90
	s_wait_alu 0xf1ff
	v_add_co_ci_u32_e64 v90, s1, v101, v91, s1
	s_clause 0x3
	global_store_b128 v[83:84], v[32:35], off
	global_store_b128 v[87:88], v[36:39], off
	;; [unrolled: 1-line block ×4, first 2 shown]
	v_mad_co_u64_u32 v[86:87], null, s4, v70, 0
	v_mov_b32_e32 v85, v95
	v_mad_co_u64_u32 v[88:89], null, s4, v71, 0
	v_lshlrev_b64_e32 v[83:84], 4, v[92:93]
	s_delay_alu instid0(VALU_DEP_3) | instskip(SKIP_1) | instid1(VALU_DEP_4)
	v_mad_co_u64_u32 v[90:91], null, s5, v72, v[85:86]
	v_mov_b32_e32 v85, v87
	v_mov_b32_e32 v87, v89
	s_delay_alu instid0(VALU_DEP_4)
	v_add_co_u32 v83, s1, v100, v83
	v_mad_co_u64_u32 v[91:92], null, s4, v69, 0
	s_wait_alu 0xf1ff
	v_add_co_ci_u32_e64 v84, s1, v101, v84, s1
	v_mov_b32_e32 v95, v90
	v_mad_co_u64_u32 v[96:97], null, s5, v70, v[85:86]
	v_mad_co_u64_u32 v[97:98], null, s5, v71, v[87:88]
	;; [unrolled: 1-line block ×3, first 2 shown]
	global_store_b128 v[83:84], v[20:23], off
	v_lshlrev_b64_e32 v[84:85], 4, v[94:95]
	v_mov_b32_e32 v83, v92
	v_mov_b32_e32 v87, v96
	;; [unrolled: 1-line block ×3, first 2 shown]
	s_delay_alu instid0(VALU_DEP_3)
	v_mad_co_u64_u32 v[92:93], null, s5, v69, v[83:84]
	v_mov_b32_e32 v83, v99
	v_add_co_u32 v84, s1, v100, v84
	v_lshlrev_b64_e32 v[86:87], 4, v[86:87]
	v_lshlrev_b64_e32 v[88:89], 4, v[88:89]
	s_wait_alu 0xf1ff
	v_add_co_ci_u32_e64 v85, s1, v101, v85, s1
	v_mad_co_u64_u32 v[93:94], null, s5, v66, v[83:84]
	s_delay_alu instid0(VALU_DEP_4)
	v_add_co_u32 v86, s1, v100, v86
	v_lshlrev_b64_e32 v[90:91], 4, v[91:92]
	s_wait_alu 0xf1ff
	v_add_co_ci_u32_e64 v87, s1, v101, v87, s1
	v_add_co_u32 v88, s1, v100, v88
	v_mov_b32_e32 v99, v93
	s_wait_alu 0xf1ff
	v_add_co_ci_u32_e64 v89, s1, v101, v89, s1
	v_add_co_u32 v90, s1, v100, v90
	s_delay_alu instid0(VALU_DEP_3) | instskip(SKIP_2) | instid1(VALU_DEP_2)
	v_lshlrev_b64_e32 v[92:93], 4, v[98:99]
	s_wait_alu 0xf1ff
	v_add_co_ci_u32_e64 v91, s1, v101, v91, s1
	v_add_co_u32 v92, s1, v100, v92
	s_wait_alu 0xf1ff
	s_delay_alu instid0(VALU_DEP_3)
	v_add_co_ci_u32_e64 v93, s1, v101, v93, s1
	s_clause 0x4
	global_store_b128 v[84:85], v[16:19], off
	global_store_b128 v[86:87], v[8:11], off
	;; [unrolled: 1-line block ×5, first 2 shown]
.LBB0_42:
	s_wait_alu 0xfffe
	s_or_b32 exec_lo, exec_lo, s8
	s_xor_b32 s1, s33, -1
	s_and_b32 s0, s0, vcc_lo
	s_wait_alu 0xfffe
	s_and_b32 s0, s1, s0
	s_wait_alu 0xfffe
	s_and_saveexec_b32 s1, s0
	s_cbranch_execz .LBB0_44
; %bb.43:
	v_mad_co_u64_u32 v[83:84], null, s4, v82, 0
	v_mad_co_u64_u32 v[85:86], null, s4, v80, 0
	;; [unrolled: 1-line block ×3, first 2 shown]
	s_lshl_b64 s[0:1], s[6:7], 4
	s_wait_alu 0xfffe
	s_add_nc_u64 s[0:1], s[2:3], s[0:1]
	s_delay_alu instid0(VALU_DEP_2) | instskip(SKIP_4) | instid1(VALU_DEP_4)
	v_mad_co_u64_u32 v[89:90], null, s5, v82, v[84:85]
	s_wait_alu 0xfffe
	v_add_co_u32 v90, vcc_lo, s0, v67
	v_add_co_ci_u32_e32 v91, vcc_lo, s1, v68, vcc_lo
	v_dual_mov_b32 v67, v86 :: v_dual_mov_b32 v68, v88
	v_mov_b32_e32 v84, v89
	s_delay_alu instid0(VALU_DEP_4)
	v_add_co_u32 v64, vcc_lo, v90, v64
	s_wait_alu 0xfffd
	v_add_co_ci_u32_e32 v65, vcc_lo, v91, v65, vcc_lo
	v_mad_co_u64_u32 v[88:89], null, s5, v80, v[67:68]
	v_mad_co_u64_u32 v[67:68], null, s5, v81, v[68:69]
	;; [unrolled: 1-line block ×3, first 2 shown]
	v_lshlrev_b64_e32 v[82:83], 4, v[83:84]
	global_store_b128 v[64:65], v[60:63], off
	v_mov_b32_e32 v86, v88
	v_mov_b32_e32 v88, v67
	;; [unrolled: 1-line block ×3, first 2 shown]
	v_add_co_u32 v61, vcc_lo, v90, v82
	s_delay_alu instid0(VALU_DEP_4) | instskip(SKIP_2) | instid1(VALU_DEP_3)
	v_lshlrev_b64_e32 v[63:64], 4, v[85:86]
	s_wait_alu 0xfffd
	v_add_co_ci_u32_e32 v62, vcc_lo, v91, v83, vcc_lo
	v_mad_co_u64_u32 v[81:82], null, s5, v79, v[60:61]
	v_mad_co_u64_u32 v[82:83], null, s4, v78, 0
	v_lshlrev_b64_e32 v[67:68], 4, v[87:88]
	v_add_co_u32 v63, vcc_lo, v90, v63
	s_wait_alu 0xfffd
	v_add_co_ci_u32_e32 v64, vcc_lo, v91, v64, vcc_lo
	global_store_b128 v[61:62], v[56:59], off
	v_add_co_u32 v67, vcc_lo, v90, v67
	v_mov_b32_e32 v56, v83
	s_wait_alu 0xfffd
	v_add_co_ci_u32_e32 v68, vcc_lo, v91, v68, vcc_lo
	s_clause 0x1
	global_store_b128 v[63:64], v[48:51], off
	global_store_b128 v[67:68], v[52:55], off
	v_lshlrev_b64_e32 v[48:49], 4, v[80:81]
	v_mad_co_u64_u32 v[50:51], null, s5, v78, v[56:57]
	v_mad_co_u64_u32 v[51:52], null, s4, v76, 0
	;; [unrolled: 1-line block ×3, first 2 shown]
	s_delay_alu instid0(VALU_DEP_4) | instskip(SKIP_2) | instid1(VALU_DEP_4)
	v_add_co_u32 v48, vcc_lo, v90, v48
	s_wait_alu 0xfffd
	v_add_co_ci_u32_e32 v49, vcc_lo, v91, v49, vcc_lo
	v_dual_mov_b32 v83, v50 :: v_dual_mov_b32 v50, v52
	v_mad_co_u64_u32 v[55:56], null, s4, v75, 0
	global_store_b128 v[48:49], v[44:47], off
	v_lshlrev_b64_e32 v[45:46], 4, v[82:83]
	v_mov_b32_e32 v44, v54
	v_mad_co_u64_u32 v[47:48], null, s5, v76, v[50:51]
	s_delay_alu instid0(VALU_DEP_2)
	v_mad_co_u64_u32 v[48:49], null, s5, v77, v[44:45]
	v_mad_co_u64_u32 v[49:50], null, s4, v74, 0
	v_mov_b32_e32 v44, v56
	v_add_co_u32 v45, vcc_lo, v90, v45
	s_wait_alu 0xfffd
	v_add_co_ci_u32_e32 v46, vcc_lo, v91, v46, vcc_lo
	v_mov_b32_e32 v52, v47
	v_mov_b32_e32 v54, v48
	v_mad_co_u64_u32 v[47:48], null, s5, v75, v[44:45]
	v_mov_b32_e32 v44, v50
	global_store_b128 v[45:46], v[40:43], off
	v_lshlrev_b64_e32 v[40:41], 4, v[51:52]
	v_lshlrev_b64_e32 v[42:43], 4, v[53:54]
	v_mad_co_u64_u32 v[44:45], null, s5, v74, v[44:45]
	v_mad_co_u64_u32 v[45:46], null, s4, v73, 0
	v_mov_b32_e32 v56, v47
	v_add_co_u32 v40, vcc_lo, v90, v40
	s_wait_alu 0xfffd
	v_add_co_ci_u32_e32 v41, vcc_lo, v91, v41, vcc_lo
	v_mov_b32_e32 v50, v44
	v_lshlrev_b64_e32 v[47:48], 4, v[55:56]
	v_mov_b32_e32 v44, v46
	v_add_co_u32 v42, vcc_lo, v90, v42
	s_delay_alu instid0(VALU_DEP_4)
	v_lshlrev_b64_e32 v[49:50], 4, v[49:50]
	s_wait_alu 0xfffd
	v_add_co_ci_u32_e32 v43, vcc_lo, v91, v43, vcc_lo
	v_add_co_u32 v47, vcc_lo, v90, v47
	v_mad_co_u64_u32 v[51:52], null, s5, v73, v[44:45]
	s_wait_alu 0xfffd
	v_add_co_ci_u32_e32 v48, vcc_lo, v91, v48, vcc_lo
	v_mad_co_u64_u32 v[52:53], null, s4, v72, 0
	v_add_co_u32 v49, vcc_lo, v90, v49
	s_wait_alu 0xfffd
	v_add_co_ci_u32_e32 v50, vcc_lo, v91, v50, vcc_lo
	s_clause 0x3
	global_store_b128 v[40:41], v[32:35], off
	global_store_b128 v[42:43], v[36:39], off
	;; [unrolled: 1-line block ×4, first 2 shown]
	v_mad_co_u64_u32 v[27:28], null, s4, v70, 0
	v_mov_b32_e32 v46, v51
	v_mov_b32_e32 v26, v53
	v_mad_co_u64_u32 v[29:30], null, s4, v71, 0
	s_delay_alu instid0(VALU_DEP_3) | instskip(NEXT) | instid1(VALU_DEP_3)
	v_lshlrev_b64_e32 v[24:25], 4, v[45:46]
	v_mad_co_u64_u32 v[31:32], null, s5, v72, v[26:27]
	v_mov_b32_e32 v26, v28
	v_mad_co_u64_u32 v[32:33], null, s4, v69, 0
	v_mov_b32_e32 v28, v30
	v_add_co_u32 v24, vcc_lo, v90, v24
	s_wait_alu 0xfffd
	v_add_co_ci_u32_e32 v25, vcc_lo, v91, v25, vcc_lo
	v_mov_b32_e32 v53, v31
	v_mad_co_u64_u32 v[34:35], null, s5, v70, v[26:27]
	v_mad_co_u64_u32 v[35:36], null, s5, v71, v[28:29]
	;; [unrolled: 1-line block ×3, first 2 shown]
	global_store_b128 v[24:25], v[20:23], off
	v_lshlrev_b64_e32 v[21:22], 4, v[52:53]
	v_mov_b32_e32 v20, v33
	v_mov_b32_e32 v28, v34
	;; [unrolled: 1-line block ×3, first 2 shown]
	s_delay_alu instid0(VALU_DEP_3)
	v_mad_co_u64_u32 v[23:24], null, s5, v69, v[20:21]
	v_mov_b32_e32 v20, v37
	v_add_co_u32 v21, vcc_lo, v90, v21
	v_lshlrev_b64_e32 v[24:25], 4, v[27:28]
	s_wait_alu 0xfffd
	v_add_co_ci_u32_e32 v22, vcc_lo, v91, v22, vcc_lo
	s_delay_alu instid0(VALU_DEP_3)
	v_mad_co_u64_u32 v[26:27], null, s5, v66, v[20:21]
	v_lshlrev_b64_e32 v[27:28], 4, v[29:30]
	v_mov_b32_e32 v33, v23
	v_add_co_u32 v23, vcc_lo, v90, v24
	s_wait_alu 0xfffd
	v_add_co_ci_u32_e32 v24, vcc_lo, v91, v25, vcc_lo
	v_mov_b32_e32 v37, v26
	v_lshlrev_b64_e32 v[29:30], 4, v[32:33]
	v_add_co_u32 v25, vcc_lo, v90, v27
	s_wait_alu 0xfffd
	v_add_co_ci_u32_e32 v26, vcc_lo, v91, v28, vcc_lo
	v_lshlrev_b64_e32 v[27:28], 4, v[36:37]
	s_delay_alu instid0(VALU_DEP_4) | instskip(SKIP_2) | instid1(VALU_DEP_3)
	v_add_co_u32 v29, vcc_lo, v90, v29
	s_wait_alu 0xfffd
	v_add_co_ci_u32_e32 v30, vcc_lo, v91, v30, vcc_lo
	v_add_co_u32 v27, vcc_lo, v90, v27
	s_wait_alu 0xfffd
	v_add_co_ci_u32_e32 v28, vcc_lo, v91, v28, vcc_lo
	s_clause 0x4
	global_store_b128 v[21:22], v[16:19], off
	global_store_b128 v[23:24], v[8:11], off
	;; [unrolled: 1-line block ×5, first 2 shown]
.LBB0_44:
	s_nop 0
	s_sendmsg sendmsg(MSG_DEALLOC_VGPRS)
	s_endpgm
	.section	.rodata,"a",@progbits
	.p2align	6, 0x0
	.amdhsa_kernel fft_rtc_back_len208_factors_13_16_wgs_144_tpt_16_dp_ip_CI_sbcc_dirReg_intrinsicRead
		.amdhsa_group_segment_fixed_size 0
		.amdhsa_private_segment_fixed_size 0
		.amdhsa_kernarg_size 96
		.amdhsa_user_sgpr_count 2
		.amdhsa_user_sgpr_dispatch_ptr 0
		.amdhsa_user_sgpr_queue_ptr 0
		.amdhsa_user_sgpr_kernarg_segment_ptr 1
		.amdhsa_user_sgpr_dispatch_id 0
		.amdhsa_user_sgpr_private_segment_size 0
		.amdhsa_wavefront_size32 1
		.amdhsa_uses_dynamic_stack 0
		.amdhsa_enable_private_segment 0
		.amdhsa_system_sgpr_workgroup_id_x 1
		.amdhsa_system_sgpr_workgroup_id_y 0
		.amdhsa_system_sgpr_workgroup_id_z 0
		.amdhsa_system_sgpr_workgroup_info 0
		.amdhsa_system_vgpr_workitem_id 0
		.amdhsa_next_free_vgpr 233
		.amdhsa_next_free_sgpr 49
		.amdhsa_reserve_vcc 1
		.amdhsa_float_round_mode_32 0
		.amdhsa_float_round_mode_16_64 0
		.amdhsa_float_denorm_mode_32 3
		.amdhsa_float_denorm_mode_16_64 3
		.amdhsa_fp16_overflow 0
		.amdhsa_workgroup_processor_mode 1
		.amdhsa_memory_ordered 1
		.amdhsa_forward_progress 0
		.amdhsa_round_robin_scheduling 0
		.amdhsa_exception_fp_ieee_invalid_op 0
		.amdhsa_exception_fp_denorm_src 0
		.amdhsa_exception_fp_ieee_div_zero 0
		.amdhsa_exception_fp_ieee_overflow 0
		.amdhsa_exception_fp_ieee_underflow 0
		.amdhsa_exception_fp_ieee_inexact 0
		.amdhsa_exception_int_div_zero 0
	.end_amdhsa_kernel
	.text
.Lfunc_end0:
	.size	fft_rtc_back_len208_factors_13_16_wgs_144_tpt_16_dp_ip_CI_sbcc_dirReg_intrinsicRead, .Lfunc_end0-fft_rtc_back_len208_factors_13_16_wgs_144_tpt_16_dp_ip_CI_sbcc_dirReg_intrinsicRead
                                        ; -- End function
	.section	.AMDGPU.csdata,"",@progbits
; Kernel info:
; codeLenInByte = 10044
; NumSgprs: 51
; NumVgprs: 233
; ScratchSize: 0
; MemoryBound: 0
; FloatMode: 240
; IeeeMode: 1
; LDSByteSize: 0 bytes/workgroup (compile time only)
; SGPRBlocks: 6
; VGPRBlocks: 29
; NumSGPRsForWavesPerEU: 51
; NumVGPRsForWavesPerEU: 233
; Occupancy: 6
; WaveLimiterHint : 1
; COMPUTE_PGM_RSRC2:SCRATCH_EN: 0
; COMPUTE_PGM_RSRC2:USER_SGPR: 2
; COMPUTE_PGM_RSRC2:TRAP_HANDLER: 0
; COMPUTE_PGM_RSRC2:TGID_X_EN: 1
; COMPUTE_PGM_RSRC2:TGID_Y_EN: 0
; COMPUTE_PGM_RSRC2:TGID_Z_EN: 0
; COMPUTE_PGM_RSRC2:TIDIG_COMP_CNT: 0
	.text
	.p2alignl 7, 3214868480
	.fill 96, 4, 3214868480
	.type	__hip_cuid_969b19e43368b08e,@object ; @__hip_cuid_969b19e43368b08e
	.section	.bss,"aw",@nobits
	.globl	__hip_cuid_969b19e43368b08e
__hip_cuid_969b19e43368b08e:
	.byte	0                               ; 0x0
	.size	__hip_cuid_969b19e43368b08e, 1

	.ident	"AMD clang version 19.0.0git (https://github.com/RadeonOpenCompute/llvm-project roc-6.4.0 25133 c7fe45cf4b819c5991fe208aaa96edf142730f1d)"
	.section	".note.GNU-stack","",@progbits
	.addrsig
	.addrsig_sym __hip_cuid_969b19e43368b08e
	.amdgpu_metadata
---
amdhsa.kernels:
  - .args:
      - .actual_access:  read_only
        .address_space:  global
        .offset:         0
        .size:           8
        .value_kind:     global_buffer
      - .address_space:  global
        .offset:         8
        .size:           8
        .value_kind:     global_buffer
      - .offset:         16
        .size:           8
        .value_kind:     by_value
      - .actual_access:  read_only
        .address_space:  global
        .offset:         24
        .size:           8
        .value_kind:     global_buffer
      - .actual_access:  read_only
        .address_space:  global
        .offset:         32
        .size:           8
        .value_kind:     global_buffer
      - .offset:         40
        .size:           8
        .value_kind:     by_value
      - .actual_access:  read_only
        .address_space:  global
        .offset:         48
        .size:           8
        .value_kind:     global_buffer
      - .actual_access:  read_only
        .address_space:  global
        .offset:         56
        .size:           8
        .value_kind:     global_buffer
      - .offset:         64
        .size:           4
        .value_kind:     by_value
      - .actual_access:  read_only
        .address_space:  global
        .offset:         72
        .size:           8
        .value_kind:     global_buffer
      - .actual_access:  read_only
        .address_space:  global
        .offset:         80
        .size:           8
        .value_kind:     global_buffer
      - .address_space:  global
        .offset:         88
        .size:           8
        .value_kind:     global_buffer
    .group_segment_fixed_size: 0
    .kernarg_segment_align: 8
    .kernarg_segment_size: 96
    .language:       OpenCL C
    .language_version:
      - 2
      - 0
    .max_flat_workgroup_size: 144
    .name:           fft_rtc_back_len208_factors_13_16_wgs_144_tpt_16_dp_ip_CI_sbcc_dirReg_intrinsicRead
    .private_segment_fixed_size: 0
    .sgpr_count:     51
    .sgpr_spill_count: 0
    .symbol:         fft_rtc_back_len208_factors_13_16_wgs_144_tpt_16_dp_ip_CI_sbcc_dirReg_intrinsicRead.kd
    .uniform_work_group_size: 1
    .uses_dynamic_stack: false
    .vgpr_count:     233
    .vgpr_spill_count: 0
    .wavefront_size: 32
    .workgroup_processor_mode: 1
amdhsa.target:   amdgcn-amd-amdhsa--gfx1201
amdhsa.version:
  - 1
  - 2
...

	.end_amdgpu_metadata
